;; amdgpu-corpus repo=ROCm/rocFFT kind=compiled arch=gfx1201 opt=O3
	.text
	.amdgcn_target "amdgcn-amd-amdhsa--gfx1201"
	.amdhsa_code_object_version 6
	.protected	fft_rtc_back_len900_factors_10_10_3_3_wgs_180_tpt_90_halfLds_half_op_CI_CI_unitstride_sbrr_C2R_dirReg ; -- Begin function fft_rtc_back_len900_factors_10_10_3_3_wgs_180_tpt_90_halfLds_half_op_CI_CI_unitstride_sbrr_C2R_dirReg
	.globl	fft_rtc_back_len900_factors_10_10_3_3_wgs_180_tpt_90_halfLds_half_op_CI_CI_unitstride_sbrr_C2R_dirReg
	.p2align	8
	.type	fft_rtc_back_len900_factors_10_10_3_3_wgs_180_tpt_90_halfLds_half_op_CI_CI_unitstride_sbrr_C2R_dirReg,@function
fft_rtc_back_len900_factors_10_10_3_3_wgs_180_tpt_90_halfLds_half_op_CI_CI_unitstride_sbrr_C2R_dirReg: ; @fft_rtc_back_len900_factors_10_10_3_3_wgs_180_tpt_90_halfLds_half_op_CI_CI_unitstride_sbrr_C2R_dirReg
; %bb.0:
	s_clause 0x2
	s_load_b128 s[8:11], s[0:1], 0x0
	s_load_b128 s[4:7], s[0:1], 0x58
	;; [unrolled: 1-line block ×3, first 2 shown]
	v_mul_u32_u24_e32 v1, 0x2d9, v0
	v_mov_b32_e32 v3, 0
	v_mov_b32_e32 v7, 0
	;; [unrolled: 1-line block ×3, first 2 shown]
	s_delay_alu instid0(VALU_DEP_4) | instskip(NEXT) | instid1(VALU_DEP_4)
	v_lshrrev_b32_e32 v11, 16, v1
	v_mov_b32_e32 v10, v3
	s_delay_alu instid0(VALU_DEP_2) | instskip(SKIP_2) | instid1(VALU_DEP_1)
	v_lshl_add_u32 v9, ttmp9, 1, v11
	s_wait_kmcnt 0x0
	v_cmp_lt_u64_e64 s2, s[10:11], 2
	s_and_b32 vcc_lo, exec_lo, s2
	s_cbranch_vccnz .LBB0_8
; %bb.1:
	s_load_b64 s[2:3], s[0:1], 0x10
	v_mov_b32_e32 v7, 0
	v_mov_b32_e32 v8, 0
	s_delay_alu instid0(VALU_DEP_2)
	v_mov_b32_e32 v1, v7
	s_add_nc_u64 s[16:17], s[14:15], 8
	s_add_nc_u64 s[18:19], s[12:13], 8
	s_mov_b64 s[20:21], 1
	v_mov_b32_e32 v2, v8
	s_wait_kmcnt 0x0
	s_add_nc_u64 s[22:23], s[2:3], 8
	s_mov_b32 s3, 0
.LBB0_2:                                ; =>This Inner Loop Header: Depth=1
	s_load_b64 s[24:25], s[22:23], 0x0
                                        ; implicit-def: $vgpr5_vgpr6
	s_mov_b32 s2, exec_lo
	s_wait_kmcnt 0x0
	v_or_b32_e32 v4, s25, v10
	s_delay_alu instid0(VALU_DEP_1)
	v_cmpx_ne_u64_e32 0, v[3:4]
	s_wait_alu 0xfffe
	s_xor_b32 s26, exec_lo, s2
	s_cbranch_execz .LBB0_4
; %bb.3:                                ;   in Loop: Header=BB0_2 Depth=1
	s_cvt_f32_u32 s2, s24
	s_cvt_f32_u32 s27, s25
	s_sub_nc_u64 s[30:31], 0, s[24:25]
	s_wait_alu 0xfffe
	s_delay_alu instid0(SALU_CYCLE_1) | instskip(SKIP_1) | instid1(SALU_CYCLE_2)
	s_fmamk_f32 s2, s27, 0x4f800000, s2
	s_wait_alu 0xfffe
	v_s_rcp_f32 s2, s2
	s_delay_alu instid0(TRANS32_DEP_1) | instskip(SKIP_1) | instid1(SALU_CYCLE_2)
	s_mul_f32 s2, s2, 0x5f7ffffc
	s_wait_alu 0xfffe
	s_mul_f32 s27, s2, 0x2f800000
	s_wait_alu 0xfffe
	s_delay_alu instid0(SALU_CYCLE_2) | instskip(SKIP_1) | instid1(SALU_CYCLE_2)
	s_trunc_f32 s27, s27
	s_wait_alu 0xfffe
	s_fmamk_f32 s2, s27, 0xcf800000, s2
	s_cvt_u32_f32 s29, s27
	s_wait_alu 0xfffe
	s_delay_alu instid0(SALU_CYCLE_1) | instskip(SKIP_1) | instid1(SALU_CYCLE_2)
	s_cvt_u32_f32 s28, s2
	s_wait_alu 0xfffe
	s_mul_u64 s[34:35], s[30:31], s[28:29]
	s_wait_alu 0xfffe
	s_mul_hi_u32 s37, s28, s35
	s_mul_i32 s36, s28, s35
	s_mul_hi_u32 s2, s28, s34
	s_mul_i32 s33, s29, s34
	s_wait_alu 0xfffe
	s_add_nc_u64 s[36:37], s[2:3], s[36:37]
	s_mul_hi_u32 s27, s29, s34
	s_mul_hi_u32 s38, s29, s35
	s_add_co_u32 s2, s36, s33
	s_wait_alu 0xfffe
	s_add_co_ci_u32 s2, s37, s27
	s_mul_i32 s34, s29, s35
	s_add_co_ci_u32 s35, s38, 0
	s_wait_alu 0xfffe
	s_add_nc_u64 s[34:35], s[2:3], s[34:35]
	s_wait_alu 0xfffe
	v_add_co_u32 v4, s2, s28, s34
	s_delay_alu instid0(VALU_DEP_1) | instskip(SKIP_1) | instid1(VALU_DEP_1)
	s_cmp_lg_u32 s2, 0
	s_add_co_ci_u32 s29, s29, s35
	v_readfirstlane_b32 s28, v4
	s_wait_alu 0xfffe
	s_delay_alu instid0(VALU_DEP_1)
	s_mul_u64 s[30:31], s[30:31], s[28:29]
	s_wait_alu 0xfffe
	s_mul_hi_u32 s35, s28, s31
	s_mul_i32 s34, s28, s31
	s_mul_hi_u32 s2, s28, s30
	s_mul_i32 s33, s29, s30
	s_wait_alu 0xfffe
	s_add_nc_u64 s[34:35], s[2:3], s[34:35]
	s_mul_hi_u32 s27, s29, s30
	s_mul_hi_u32 s28, s29, s31
	s_wait_alu 0xfffe
	s_add_co_u32 s2, s34, s33
	s_add_co_ci_u32 s2, s35, s27
	s_mul_i32 s30, s29, s31
	s_add_co_ci_u32 s31, s28, 0
	s_wait_alu 0xfffe
	s_add_nc_u64 s[30:31], s[2:3], s[30:31]
	s_wait_alu 0xfffe
	v_add_co_u32 v6, s2, v4, s30
	s_delay_alu instid0(VALU_DEP_1) | instskip(SKIP_1) | instid1(VALU_DEP_1)
	s_cmp_lg_u32 s2, 0
	s_add_co_ci_u32 s2, s29, s31
	v_mul_hi_u32 v16, v9, v6
	s_wait_alu 0xfffe
	v_mad_co_u64_u32 v[4:5], null, v9, s2, 0
	v_mad_co_u64_u32 v[12:13], null, v10, v6, 0
	;; [unrolled: 1-line block ×3, first 2 shown]
	s_delay_alu instid0(VALU_DEP_3) | instskip(SKIP_1) | instid1(VALU_DEP_4)
	v_add_co_u32 v4, vcc_lo, v16, v4
	s_wait_alu 0xfffd
	v_add_co_ci_u32_e32 v5, vcc_lo, 0, v5, vcc_lo
	s_delay_alu instid0(VALU_DEP_2) | instskip(SKIP_1) | instid1(VALU_DEP_2)
	v_add_co_u32 v4, vcc_lo, v4, v12
	s_wait_alu 0xfffd
	v_add_co_ci_u32_e32 v4, vcc_lo, v5, v13, vcc_lo
	s_wait_alu 0xfffd
	v_add_co_ci_u32_e32 v5, vcc_lo, 0, v15, vcc_lo
	s_delay_alu instid0(VALU_DEP_2) | instskip(SKIP_1) | instid1(VALU_DEP_2)
	v_add_co_u32 v12, vcc_lo, v4, v14
	s_wait_alu 0xfffd
	v_add_co_ci_u32_e32 v6, vcc_lo, 0, v5, vcc_lo
	s_delay_alu instid0(VALU_DEP_2) | instskip(SKIP_1) | instid1(VALU_DEP_3)
	v_mul_lo_u32 v13, s25, v12
	v_mad_co_u64_u32 v[4:5], null, s24, v12, 0
	v_mul_lo_u32 v14, s24, v6
	s_delay_alu instid0(VALU_DEP_2) | instskip(NEXT) | instid1(VALU_DEP_2)
	v_sub_co_u32 v4, vcc_lo, v9, v4
	v_add3_u32 v5, v5, v14, v13
	s_delay_alu instid0(VALU_DEP_1) | instskip(SKIP_1) | instid1(VALU_DEP_1)
	v_sub_nc_u32_e32 v13, v10, v5
	s_wait_alu 0xfffd
	v_subrev_co_ci_u32_e64 v13, s2, s25, v13, vcc_lo
	v_add_co_u32 v14, s2, v12, 2
	s_wait_alu 0xf1ff
	v_add_co_ci_u32_e64 v15, s2, 0, v6, s2
	v_sub_co_u32 v16, s2, v4, s24
	v_sub_co_ci_u32_e32 v5, vcc_lo, v10, v5, vcc_lo
	s_wait_alu 0xf1ff
	v_subrev_co_ci_u32_e64 v13, s2, 0, v13, s2
	s_delay_alu instid0(VALU_DEP_3) | instskip(NEXT) | instid1(VALU_DEP_3)
	v_cmp_le_u32_e32 vcc_lo, s24, v16
	v_cmp_eq_u32_e64 s2, s25, v5
	s_wait_alu 0xfffd
	v_cndmask_b32_e64 v16, 0, -1, vcc_lo
	v_cmp_le_u32_e32 vcc_lo, s25, v13
	s_wait_alu 0xfffd
	v_cndmask_b32_e64 v17, 0, -1, vcc_lo
	v_cmp_le_u32_e32 vcc_lo, s24, v4
	;; [unrolled: 3-line block ×3, first 2 shown]
	s_wait_alu 0xfffd
	v_cndmask_b32_e64 v18, 0, -1, vcc_lo
	v_cmp_eq_u32_e32 vcc_lo, s25, v13
	s_wait_alu 0xf1ff
	s_delay_alu instid0(VALU_DEP_2)
	v_cndmask_b32_e64 v4, v18, v4, s2
	s_wait_alu 0xfffd
	v_cndmask_b32_e32 v13, v17, v16, vcc_lo
	v_add_co_u32 v16, vcc_lo, v12, 1
	s_wait_alu 0xfffd
	v_add_co_ci_u32_e32 v17, vcc_lo, 0, v6, vcc_lo
	s_delay_alu instid0(VALU_DEP_3) | instskip(SKIP_1) | instid1(VALU_DEP_2)
	v_cmp_ne_u32_e32 vcc_lo, 0, v13
	s_wait_alu 0xfffd
	v_cndmask_b32_e32 v5, v17, v15, vcc_lo
	v_cndmask_b32_e32 v13, v16, v14, vcc_lo
	v_cmp_ne_u32_e32 vcc_lo, 0, v4
	s_wait_alu 0xfffd
	s_delay_alu instid0(VALU_DEP_3) | instskip(NEXT) | instid1(VALU_DEP_3)
	v_cndmask_b32_e32 v6, v6, v5, vcc_lo
	v_cndmask_b32_e32 v5, v12, v13, vcc_lo
.LBB0_4:                                ;   in Loop: Header=BB0_2 Depth=1
	s_wait_alu 0xfffe
	s_and_not1_saveexec_b32 s2, s26
	s_cbranch_execz .LBB0_6
; %bb.5:                                ;   in Loop: Header=BB0_2 Depth=1
	v_cvt_f32_u32_e32 v4, s24
	s_sub_co_i32 s26, 0, s24
	s_delay_alu instid0(VALU_DEP_1) | instskip(NEXT) | instid1(TRANS32_DEP_1)
	v_rcp_iflag_f32_e32 v4, v4
	v_mul_f32_e32 v4, 0x4f7ffffe, v4
	s_delay_alu instid0(VALU_DEP_1) | instskip(SKIP_1) | instid1(VALU_DEP_1)
	v_cvt_u32_f32_e32 v4, v4
	s_wait_alu 0xfffe
	v_mul_lo_u32 v5, s26, v4
	s_delay_alu instid0(VALU_DEP_1) | instskip(NEXT) | instid1(VALU_DEP_1)
	v_mul_hi_u32 v5, v4, v5
	v_add_nc_u32_e32 v4, v4, v5
	s_delay_alu instid0(VALU_DEP_1) | instskip(NEXT) | instid1(VALU_DEP_1)
	v_mul_hi_u32 v4, v9, v4
	v_mul_lo_u32 v5, v4, s24
	v_add_nc_u32_e32 v6, 1, v4
	s_delay_alu instid0(VALU_DEP_2) | instskip(NEXT) | instid1(VALU_DEP_1)
	v_sub_nc_u32_e32 v5, v9, v5
	v_subrev_nc_u32_e32 v12, s24, v5
	v_cmp_le_u32_e32 vcc_lo, s24, v5
	s_wait_alu 0xfffd
	s_delay_alu instid0(VALU_DEP_2) | instskip(NEXT) | instid1(VALU_DEP_1)
	v_dual_cndmask_b32 v5, v5, v12 :: v_dual_cndmask_b32 v4, v4, v6
	v_cmp_le_u32_e32 vcc_lo, s24, v5
	s_delay_alu instid0(VALU_DEP_2) | instskip(SKIP_1) | instid1(VALU_DEP_1)
	v_add_nc_u32_e32 v6, 1, v4
	s_wait_alu 0xfffd
	v_dual_cndmask_b32 v5, v4, v6 :: v_dual_mov_b32 v6, v3
.LBB0_6:                                ;   in Loop: Header=BB0_2 Depth=1
	s_wait_alu 0xfffe
	s_or_b32 exec_lo, exec_lo, s2
	s_delay_alu instid0(VALU_DEP_1) | instskip(NEXT) | instid1(VALU_DEP_2)
	v_mul_lo_u32 v4, v6, s24
	v_mul_lo_u32 v14, v5, s25
	s_load_b64 s[26:27], s[18:19], 0x0
	v_mad_co_u64_u32 v[12:13], null, v5, s24, 0
	s_load_b64 s[24:25], s[16:17], 0x0
	s_add_nc_u64 s[20:21], s[20:21], 1
	s_add_nc_u64 s[16:17], s[16:17], 8
	s_wait_alu 0xfffe
	v_cmp_ge_u64_e64 s2, s[20:21], s[10:11]
	s_add_nc_u64 s[18:19], s[18:19], 8
	s_add_nc_u64 s[22:23], s[22:23], 8
	v_add3_u32 v4, v13, v14, v4
	v_sub_co_u32 v9, vcc_lo, v9, v12
	s_wait_alu 0xfffd
	s_delay_alu instid0(VALU_DEP_2) | instskip(SKIP_2) | instid1(VALU_DEP_1)
	v_sub_co_ci_u32_e32 v4, vcc_lo, v10, v4, vcc_lo
	s_and_b32 vcc_lo, exec_lo, s2
	s_wait_kmcnt 0x0
	v_mul_lo_u32 v10, s26, v4
	v_mul_lo_u32 v12, s27, v9
	v_mad_co_u64_u32 v[7:8], null, s26, v9, v[7:8]
	v_mul_lo_u32 v4, s24, v4
	v_mul_lo_u32 v13, s25, v9
	v_mad_co_u64_u32 v[1:2], null, s24, v9, v[1:2]
	s_delay_alu instid0(VALU_DEP_4) | instskip(NEXT) | instid1(VALU_DEP_2)
	v_add3_u32 v8, v12, v8, v10
	v_add3_u32 v2, v13, v2, v4
	s_wait_alu 0xfffe
	s_cbranch_vccnz .LBB0_9
; %bb.7:                                ;   in Loop: Header=BB0_2 Depth=1
	v_dual_mov_b32 v10, v6 :: v_dual_mov_b32 v9, v5
	s_branch .LBB0_2
.LBB0_8:
	v_dual_mov_b32 v1, v7 :: v_dual_mov_b32 v2, v8
	v_dual_mov_b32 v5, v9 :: v_dual_mov_b32 v6, v10
.LBB0_9:
	s_load_b64 s[0:1], s[0:1], 0x28
	v_and_b32_e32 v3, 1, v11
	v_mul_hi_u32 v9, 0x2d82d83, v0
	s_lshl_b64 s[10:11], s[10:11], 3
	s_wait_alu 0xfffe
	s_add_nc_u64 s[2:3], s[14:15], s[10:11]
	s_wait_kmcnt 0x0
	v_cmp_gt_u64_e32 vcc_lo, s[0:1], v[5:6]
	v_cmp_le_u64_e64 s1, s[0:1], v[5:6]
	v_cmp_eq_u32_e64 s0, 1, v3
                                        ; implicit-def: $vgpr3
	s_delay_alu instid0(VALU_DEP_2) | instskip(NEXT) | instid1(SALU_CYCLE_1)
	s_and_saveexec_b32 s14, s1
	s_xor_b32 s1, exec_lo, s14
; %bb.10:
	v_mul_u32_u24_e32 v3, 0x5a, v9
                                        ; implicit-def: $vgpr9
                                        ; implicit-def: $vgpr7_vgpr8
	s_delay_alu instid0(VALU_DEP_1)
	v_sub_nc_u32_e32 v3, v0, v3
                                        ; implicit-def: $vgpr0
; %bb.11:
	s_wait_alu 0xfffe
	s_or_saveexec_b32 s1, s1
	s_load_b64 s[2:3], s[2:3], 0x0
	v_cndmask_b32_e64 v4, 0, 0x385, s0
	s_delay_alu instid0(VALU_DEP_1)
	v_lshlrev_b32_e32 v17, 2, v4
	s_xor_b32 exec_lo, exec_lo, s1
	s_cbranch_execz .LBB0_15
; %bb.12:
	s_add_nc_u64 s[10:11], s[12:13], s[10:11]
	v_lshlrev_b64_e32 v[7:8], 2, v[7:8]
	s_load_b64 s[10:11], s[10:11], 0x0
	s_wait_kmcnt 0x0
	v_mul_lo_u32 v3, s11, v5
	v_mul_lo_u32 v12, s10, v6
	v_mad_co_u64_u32 v[10:11], null, s10, v5, 0
	s_delay_alu instid0(VALU_DEP_1) | instskip(SKIP_1) | instid1(VALU_DEP_2)
	v_add3_u32 v11, v11, v12, v3
	v_mul_u32_u24_e32 v3, 0x5a, v9
	v_lshlrev_b64_e32 v[9:10], 2, v[10:11]
	s_delay_alu instid0(VALU_DEP_2) | instskip(NEXT) | instid1(VALU_DEP_1)
	v_sub_nc_u32_e32 v3, v0, v3
	v_lshlrev_b32_e32 v11, 2, v3
	s_delay_alu instid0(VALU_DEP_3) | instskip(SKIP_1) | instid1(VALU_DEP_4)
	v_add_co_u32 v0, s0, s4, v9
	s_wait_alu 0xf1ff
	v_add_co_ci_u32_e64 v9, s0, s5, v10, s0
	s_mov_b32 s4, exec_lo
	s_delay_alu instid0(VALU_DEP_2) | instskip(SKIP_1) | instid1(VALU_DEP_2)
	v_add_co_u32 v7, s0, v0, v7
	s_wait_alu 0xf1ff
	v_add_co_ci_u32_e64 v8, s0, v9, v8, s0
	v_add3_u32 v0, 0, v17, v11
	s_delay_alu instid0(VALU_DEP_3) | instskip(SKIP_1) | instid1(VALU_DEP_3)
	v_add_co_u32 v9, s0, v7, v11
	s_wait_alu 0xf1ff
	v_add_co_ci_u32_e64 v10, s0, 0, v8, s0
	s_clause 0x9
	global_load_b32 v12, v[9:10], off
	global_load_b32 v13, v[9:10], off offset:360
	global_load_b32 v14, v[9:10], off offset:720
	;; [unrolled: 1-line block ×9, first 2 shown]
	v_add_nc_u32_e32 v10, 0x200, v0
	v_add_nc_u32_e32 v11, 0x400, v0
	;; [unrolled: 1-line block ×4, first 2 shown]
	s_wait_loadcnt 0x8
	ds_store_2addr_b32 v0, v12, v13 offset1:90
	s_wait_loadcnt 0x6
	ds_store_2addr_b32 v10, v14, v15 offset0:52 offset1:142
	s_wait_loadcnt 0x4
	ds_store_2addr_b32 v11, v16, v18 offset0:104 offset1:194
	;; [unrolled: 2-line block ×4, first 2 shown]
	v_cmpx_eq_u32_e32 0x59, v3
	s_cbranch_execz .LBB0_14
; %bb.13:
	global_load_b32 v7, v[7:8], off offset:3600
	v_mov_b32_e32 v3, 0x59
	s_wait_loadcnt 0x0
	ds_store_b32 v0, v7 offset:3244
.LBB0_14:
	s_wait_alu 0xfffe
	s_or_b32 exec_lo, exec_lo, s4
.LBB0_15:
	s_delay_alu instid0(SALU_CYCLE_1)
	s_or_b32 exec_lo, exec_lo, s1
	v_lshl_add_u32 v0, v4, 2, 0
	v_lshlrev_b32_e32 v4, 2, v3
	global_wb scope:SCOPE_SE
	s_wait_dscnt 0x0
	s_wait_kmcnt 0x0
	s_barrier_signal -1
	s_barrier_wait -1
	global_inv scope:SCOPE_SE
	v_add_nc_u32_e32 v18, v0, v4
	v_sub_nc_u32_e32 v9, v0, v4
	s_mov_b32 s1, exec_lo
                                        ; implicit-def: $vgpr7_vgpr8
	ds_load_u16 v12, v18
	ds_load_u16 v13, v9 offset:3600
	s_wait_dscnt 0x0
	v_add_f16_e32 v11, v13, v12
	v_sub_f16_e32 v10, v12, v13
	v_cmpx_ne_u32_e32 0, v3
	s_wait_alu 0xfffe
	s_xor_b32 s1, exec_lo, s1
	s_cbranch_execz .LBB0_17
; %bb.16:
	v_mov_b32_e32 v4, 0
	v_add_f16_e32 v11, v13, v12
	v_sub_f16_e32 v12, v12, v13
	s_delay_alu instid0(VALU_DEP_3) | instskip(NEXT) | instid1(VALU_DEP_1)
	v_lshlrev_b64_e32 v[7:8], 2, v[3:4]
	v_add_co_u32 v7, s0, s8, v7
	s_wait_alu 0xf1ff
	s_delay_alu instid0(VALU_DEP_2)
	v_add_co_ci_u32_e64 v8, s0, s9, v8, s0
	global_load_b32 v7, v[7:8], off offset:3560
	ds_load_u16 v8, v9 offset:3602
	ds_load_u16 v10, v18 offset:2
	s_wait_dscnt 0x0
	v_add_f16_e32 v13, v8, v10
	v_sub_f16_e32 v8, v10, v8
	s_wait_loadcnt 0x0
	v_lshrrev_b32_e32 v14, 16, v7
	s_delay_alu instid0(VALU_DEP_1) | instskip(NEXT) | instid1(VALU_DEP_3)
	v_fma_f16 v15, -v12, v14, v11
	v_fma_f16 v16, v13, v14, -v8
	v_fma_f16 v10, v13, v14, v8
	v_fma_f16 v11, v12, v14, v11
	s_delay_alu instid0(VALU_DEP_4) | instskip(NEXT) | instid1(VALU_DEP_4)
	v_fmac_f16_e32 v15, v7, v13
	v_fmac_f16_e32 v16, v12, v7
	s_delay_alu instid0(VALU_DEP_4) | instskip(NEXT) | instid1(VALU_DEP_4)
	v_fmac_f16_e32 v10, v12, v7
	v_fma_f16 v11, -v7, v13, v11
	v_dual_mov_b32 v8, v4 :: v_dual_mov_b32 v7, v3
	s_delay_alu instid0(VALU_DEP_4)
	v_pack_b32_f16 v12, v15, v16
	ds_store_b32 v9, v12 offset:3600
.LBB0_17:
	s_wait_alu 0xfffe
	s_and_not1_saveexec_b32 s0, s1
	s_cbranch_execz .LBB0_19
; %bb.18:
	ds_load_b32 v4, v0 offset:1800
	v_mov_b32_e32 v7, 0
	v_mov_b32_e32 v8, 0
	s_wait_dscnt 0x0
	v_pk_mul_f16 v4, 0xc0004000, v4
	ds_store_b32 v0, v4 offset:1800
.LBB0_19:
	s_wait_alu 0xfffe
	s_or_b32 exec_lo, exec_lo, s0
	v_lshlrev_b64_e32 v[7:8], 2, v[7:8]
	s_add_nc_u64 s[0:1], s[8:9], 0xde8
	s_wait_alu 0xfffe
	s_delay_alu instid0(VALU_DEP_1) | instskip(SKIP_1) | instid1(VALU_DEP_2)
	v_add_co_u32 v7, s0, s0, v7
	s_wait_alu 0xf1ff
	v_add_co_ci_u32_e64 v8, s0, s1, v8, s0
	v_cmp_gt_u32_e64 s0, 30, v3
	s_clause 0x3
	global_load_b32 v4, v[7:8], off offset:360
	global_load_b32 v12, v[7:8], off offset:720
	;; [unrolled: 1-line block ×4, first 2 shown]
	v_perm_b32 v8, v10, v11, 0x5040100
	ds_store_b32 v18, v8
	ds_load_b32 v8, v18 offset:360
	ds_load_b32 v10, v9 offset:3240
	s_wait_dscnt 0x1
	v_lshrrev_b32_e32 v11, 16, v8
	s_wait_dscnt 0x0
	v_lshrrev_b32_e32 v14, 16, v10
	v_add_f16_e32 v15, v8, v10
	v_sub_f16_e32 v8, v8, v10
	s_delay_alu instid0(VALU_DEP_3) | instskip(SKIP_3) | instid1(VALU_DEP_1)
	v_add_f16_e32 v10, v14, v11
	v_sub_f16_e32 v11, v11, v14
	s_wait_loadcnt 0x3
	v_lshrrev_b32_e32 v16, 16, v4
	v_fma_f16 v14, v8, v16, v15
	s_delay_alu instid0(VALU_DEP_3) | instskip(SKIP_2) | instid1(VALU_DEP_4)
	v_fma_f16 v19, v10, v16, v11
	v_fma_f16 v15, -v8, v16, v15
	v_fma_f16 v11, v10, v16, -v11
	v_fma_f16 v14, -v4, v10, v14
	s_delay_alu instid0(VALU_DEP_4) | instskip(NEXT) | instid1(VALU_DEP_4)
	v_fmac_f16_e32 v19, v8, v4
	v_fmac_f16_e32 v15, v4, v10
	s_delay_alu instid0(VALU_DEP_4) | instskip(NEXT) | instid1(VALU_DEP_3)
	v_fmac_f16_e32 v11, v8, v4
	v_pack_b32_f16 v4, v14, v19
	s_wait_loadcnt 0x2
	v_lshrrev_b32_e32 v14, 16, v12
	s_delay_alu instid0(VALU_DEP_3)
	v_pack_b32_f16 v8, v15, v11
	v_lshl_add_u32 v19, v3, 2, 0
	ds_store_b32 v18, v4 offset:360
	ds_store_b32 v9, v8 offset:3240
	ds_load_b32 v4, v18 offset:720
	ds_load_b32 v8, v9 offset:2880
	s_wait_dscnt 0x1
	v_lshrrev_b32_e32 v10, 16, v4
	s_wait_dscnt 0x0
	v_lshrrev_b32_e32 v11, 16, v8
	v_add_f16_e32 v15, v4, v8
	v_sub_f16_e32 v4, v4, v8
	s_delay_alu instid0(VALU_DEP_3) | instskip(SKIP_1) | instid1(VALU_DEP_3)
	v_add_f16_e32 v8, v11, v10
	v_sub_f16_e32 v10, v10, v11
	v_fma_f16 v11, v4, v14, v15
	v_fma_f16 v15, -v4, v14, v15
	s_delay_alu instid0(VALU_DEP_3) | instskip(SKIP_1) | instid1(VALU_DEP_4)
	v_fma_f16 v16, v8, v14, v10
	v_fma_f16 v10, v8, v14, -v10
	v_fma_f16 v11, -v12, v8, v11
	s_delay_alu instid0(VALU_DEP_4) | instskip(NEXT) | instid1(VALU_DEP_4)
	v_fmac_f16_e32 v15, v12, v8
	v_fmac_f16_e32 v16, v4, v12
	s_delay_alu instid0(VALU_DEP_4) | instskip(SKIP_2) | instid1(VALU_DEP_3)
	v_fmac_f16_e32 v10, v4, v12
	s_wait_loadcnt 0x1
	v_lshrrev_b32_e32 v12, 16, v13
	v_pack_b32_f16 v4, v11, v16
	s_delay_alu instid0(VALU_DEP_3)
	v_pack_b32_f16 v8, v15, v10
	ds_store_b32 v18, v4 offset:720
	ds_store_b32 v9, v8 offset:2880
	ds_load_b32 v4, v18 offset:1080
	ds_load_b32 v8, v9 offset:2520
	s_wait_dscnt 0x1
	v_lshrrev_b32_e32 v10, 16, v4
	s_wait_dscnt 0x0
	v_lshrrev_b32_e32 v11, 16, v8
	v_add_f16_e32 v14, v4, v8
	v_sub_f16_e32 v4, v4, v8
	s_delay_alu instid0(VALU_DEP_3) | instskip(SKIP_1) | instid1(VALU_DEP_3)
	v_add_f16_e32 v8, v11, v10
	v_sub_f16_e32 v10, v10, v11
	v_fma_f16 v11, v4, v12, v14
	v_fma_f16 v14, -v4, v12, v14
	s_delay_alu instid0(VALU_DEP_3) | instskip(SKIP_1) | instid1(VALU_DEP_4)
	v_fma_f16 v15, v8, v12, v10
	v_fma_f16 v10, v8, v12, -v10
	v_fma_f16 v11, -v13, v8, v11
	s_delay_alu instid0(VALU_DEP_4)
	v_fmac_f16_e32 v14, v13, v8
	v_and_b32_e32 v12, 0xff, v3
	v_fmac_f16_e32 v15, v4, v13
	v_fmac_f16_e32 v10, v4, v13
	s_wait_loadcnt 0x0
	v_lshrrev_b32_e32 v13, 16, v7
	s_delay_alu instid0(VALU_DEP_3) | instskip(NEXT) | instid1(VALU_DEP_3)
	v_pack_b32_f16 v4, v11, v15
	v_pack_b32_f16 v8, v14, v10
	ds_store_b32 v18, v4 offset:1080
	ds_store_b32 v9, v8 offset:2520
	ds_load_b32 v4, v18 offset:1440
	ds_load_b32 v8, v9 offset:2160
	s_wait_dscnt 0x1
	v_lshrrev_b32_e32 v10, 16, v4
	s_wait_dscnt 0x0
	v_lshrrev_b32_e32 v11, 16, v8
	v_add_f16_e32 v14, v4, v8
	v_sub_f16_e32 v8, v4, v8
	v_add_nc_u32_e32 v4, v19, v17
	v_mad_u32_u24 v19, v3, 36, v19
	v_add_f16_e32 v15, v11, v10
	v_sub_f16_e32 v10, v10, v11
	v_mul_lo_u16 v11, 0xcd, v12
	v_fma_f16 v12, v8, v13, v14
	v_fma_f16 v14, -v8, v13, v14
	v_add_nc_u32_e32 v22, 0x800, v4
	v_fma_f16 v16, v15, v13, v10
	v_fma_f16 v10, v15, v13, -v10
	v_lshrrev_b16 v24, 11, v11
	v_fma_f16 v11, -v7, v15, v12
	v_fmac_f16_e32 v14, v7, v15
	v_fmac_f16_e32 v16, v8, v7
	;; [unrolled: 1-line block ×3, first 2 shown]
	v_add_nc_u32_e32 v7, 0x400, v4
	v_mul_lo_u16 v12, v24, 10
	v_add_nc_u32_e32 v8, 0x600, v4
	v_pack_b32_f16 v11, v11, v16
	v_pack_b32_f16 v10, v14, v10
	ds_store_b32 v18, v11 offset:1440
	ds_store_b32 v9, v10 offset:2160
	v_sub_nc_u16 v20, v3, v12
	global_wb scope:SCOPE_SE
	s_wait_dscnt 0x0
	s_barrier_signal -1
	s_barrier_wait -1
	global_inv scope:SCOPE_SE
	global_wb scope:SCOPE_SE
	s_barrier_signal -1
	s_barrier_wait -1
	global_inv scope:SCOPE_SE
	ds_load_2addr_b32 v[9:10], v7 offset0:14 offset1:104
	ds_load_2addr_b32 v[11:12], v8 offset0:66 offset1:156
	;; [unrolled: 1-line block ×4, first 2 shown]
	ds_load_b32 v21, v18
	ds_load_b32 v25, v4 offset:3240
	v_and_b32_e32 v28, 0xff, v20
	v_add_nc_u32_e32 v23, v19, v17
	global_wb scope:SCOPE_SE
	s_wait_dscnt 0x0
	s_barrier_signal -1
	s_barrier_wait -1
	v_mul_u32_u24_e32 v20, 9, v28
	global_inv scope:SCOPE_SE
	v_lshlrev_b32_e32 v28, 2, v28
	v_lshlrev_b32_e32 v20, 2, v20
	v_lshrrev_b32_e32 v30, 16, v10
	v_add_f16_e32 v26, v10, v12
	v_lshrrev_b32_e32 v27, 16, v14
	v_lshrrev_b32_e32 v29, 16, v16
	;; [unrolled: 1-line block ×3, first 2 shown]
	v_sub_f16_e32 v32, v16, v12
	v_sub_f16_e32 v33, v14, v10
	v_add_f16_e32 v34, v14, v16
	v_sub_f16_e32 v35, v12, v16
	v_sub_f16_e32 v36, v10, v14
	v_pk_add_f16 v37, v21, v14
	v_add_f16_e32 v40, v11, v15
	v_lshrrev_b32_e32 v43, 16, v11
	v_lshrrev_b32_e32 v44, 16, v15
	v_add_f16_e32 v47, v9, v25
	v_pk_add_f16 v50, v13, v9
	v_lshrrev_b32_e32 v41, 16, v9
	v_lshrrev_b32_e32 v42, 16, v25
	v_lshrrev_b32_e32 v38, 16, v21
	v_sub_f16_e32 v39, v10, v12
	v_sub_f16_e32 v46, v9, v11
	;; [unrolled: 1-line block ×3, first 2 shown]
	v_lshrrev_b32_e32 v51, 16, v13
	v_sub_f16_e32 v52, v11, v15
	v_fma_f16 v26, -0.5, v26, v21
	v_sub_f16_e32 v53, v27, v29
	v_sub_f16_e32 v54, v30, v31
	v_add_f16_e32 v32, v33, v32
	v_fma_f16 v21, -0.5, v34, v21
	v_add_f16_e32 v33, v36, v35
	v_pk_add_f16 v10, v37, v10
	v_add_f16_e32 v34, v30, v31
	v_sub_f16_e32 v35, v27, v30
	v_add_f16_e32 v37, v27, v29
	v_sub_f16_e32 v27, v30, v27
	v_fma_f16 v30, -0.5, v40, v13
	v_fma_f16 v13, -0.5, v47, v13
	v_pk_add_f16 v11, v50, v11
	v_add_f16_e32 v47, v43, v44
	v_sub_f16_e32 v36, v29, v31
	v_sub_f16_e32 v29, v31, v29
	;; [unrolled: 1-line block ×4, first 2 shown]
	v_add_f16_e32 v50, v41, v42
	v_sub_f16_e32 v45, v25, v15
	v_sub_f16_e32 v48, v15, v25
	v_sub_f16_e32 v9, v9, v25
	v_pk_add_f16 v11, v11, v15
	v_fma_f16 v15, -0.5, v47, v51
	v_pk_add_f16 v10, v10, v12
	v_fma_f16 v12, -0.5, v34, v38
	v_add_f16_e32 v34, v35, v36
	v_add_f16_e32 v27, v27, v29
	v_fmamk_f16 v29, v31, 0xbb9c, v30
	v_fmamk_f16 v35, v40, 0x3b9c, v13
	v_fmac_f16_e32 v13, 0xbb9c, v40
	v_fmac_f16_e32 v51, -0.5, v50
	v_add_f16_e32 v45, v46, v45
	v_add_f16_e32 v46, v49, v48
	v_sub_f16_e32 v48, v41, v43
	v_sub_f16_e32 v49, v42, v44
	v_pk_add_f16 v11, v11, v25
	v_fmamk_f16 v25, v9, 0x3b9c, v15
	v_sub_f16_e32 v41, v43, v41
	v_sub_f16_e32 v42, v44, v42
	v_fmac_f16_e32 v38, -0.5, v37
	v_fmac_f16_e32 v30, 0x3b9c, v31
	v_fmac_f16_e32 v29, 0xb8b4, v40
	;; [unrolled: 1-line block ×4, first 2 shown]
	v_fmamk_f16 v31, v52, 0xbb9c, v51
	v_fmac_f16_e32 v51, 0x3b9c, v52
	v_fmac_f16_e32 v15, 0xbb9c, v9
	v_sub_f16_e32 v14, v14, v16
	v_add_f16_e32 v36, v48, v49
	v_fmac_f16_e32 v25, 0x38b4, v52
	v_fmamk_f16 v43, v53, 0xbb9c, v26
	v_fmac_f16_e32 v26, 0x3b9c, v53
	v_add_f16_e32 v37, v41, v42
	v_pk_add_f16 v10, v10, v16
	v_fmamk_f16 v41, v39, 0xbb9c, v38
	v_fmac_f16_e32 v38, 0x3b9c, v39
	v_fmac_f16_e32 v29, 0x34f2, v45
	;; [unrolled: 1-line block ×4, first 2 shown]
	v_fmamk_f16 v44, v54, 0x3b9c, v21
	v_fmac_f16_e32 v21, 0xbb9c, v54
	v_fmac_f16_e32 v15, 0xb8b4, v52
	v_fmamk_f16 v16, v14, 0x3b9c, v12
	v_fmac_f16_e32 v25, 0x34f2, v36
	v_fmac_f16_e32 v43, 0xb8b4, v54
	v_fmac_f16_e32 v26, 0x38b4, v54
	v_fmac_f16_e32 v41, 0x38b4, v14
	v_fmac_f16_e32 v38, 0xb8b4, v14
	v_pk_add_f16 v9, v10, v11
	v_pk_add_f16 v10, v10, v11 neg_lo:[0,1] neg_hi:[0,1]
	v_fmac_f16_e32 v31, 0x34f2, v37
	v_fmac_f16_e32 v51, 0x34f2, v37
	v_mul_f16_e32 v11, 0x38b4, v29
	v_fmac_f16_e32 v44, 0xb8b4, v53
	v_fmac_f16_e32 v21, 0x38b4, v53
	v_fmac_f16_e32 v12, 0xbb9c, v14
	v_fmac_f16_e32 v30, 0x38b4, v40
	v_fmac_f16_e32 v15, 0x34f2, v36
	v_fmac_f16_e32 v16, 0x38b4, v39
	v_mul_f16_e32 v14, 0xb8b4, v25
	v_fmac_f16_e32 v43, 0x34f2, v32
	v_fmac_f16_e32 v26, 0x34f2, v32
	;; [unrolled: 1-line block ×6, first 2 shown]
	v_mul_f16_e32 v27, 0xbb9c, v31
	v_mul_f16_e32 v32, 0xbb9c, v51
	v_fmac_f16_e32 v11, 0x3a79, v25
	v_mul_f16_e32 v25, 0x34f2, v31
	v_mul_f16_e32 v31, 0xb4f2, v51
	v_fmac_f16_e32 v44, 0x34f2, v33
	v_fmac_f16_e32 v21, 0x34f2, v33
	;; [unrolled: 1-line block ×4, first 2 shown]
	v_mul_f16_e32 v33, 0xb8b4, v15
	v_mul_f16_e32 v15, 0xba79, v15
	v_fmac_f16_e32 v16, 0x34f2, v34
	v_fmac_f16_e32 v14, 0x3a79, v29
	;; [unrolled: 1-line block ×9, first 2 shown]
	v_add_f16_e32 v29, v16, v11
	v_add_f16_e32 v13, v43, v14
	v_sub_f16_e32 v11, v16, v11
	v_add_f16_e32 v16, v44, v27
	v_add_f16_e32 v30, v21, v32
	;; [unrolled: 1-line block ×6, first 2 shown]
	v_sub_f16_e32 v14, v43, v14
	v_sub_f16_e32 v27, v44, v27
	;; [unrolled: 1-line block ×7, first 2 shown]
	v_pack_b32_f16 v13, v13, v29
	v_pack_b32_f16 v15, v30, v36
	;; [unrolled: 1-line block ×8, first 2 shown]
	ds_store_2addr_b32 v23, v9, v13 offset1:1
	ds_store_2addr_b32 v23, v16, v15 offset0:2 offset1:3
	ds_store_2addr_b32 v23, v29, v10 offset0:4 offset1:5
	;; [unrolled: 1-line block ×4, first 2 shown]
	global_wb scope:SCOPE_SE
	s_wait_dscnt 0x0
	s_barrier_signal -1
	s_barrier_wait -1
	global_inv scope:SCOPE_SE
	s_clause 0x2
	global_load_b128 v[9:12], v20, s[8:9]
	global_load_b128 v[13:16], v20, s[8:9] offset:16
	global_load_b32 v29, v20, s[8:9] offset:32
	ds_load_b32 v30, v18
	ds_load_2addr_b32 v[20:21], v8 offset0:66 offset1:156
	ds_load_2addr_b32 v[22:23], v22 offset0:118 offset1:208
	v_and_b32_e32 v31, 0xffff, v24
	ds_load_b32 v32, v4 offset:3240
	ds_load_2addr_b32 v[24:25], v4 offset0:90 offset1:180
	ds_load_2addr_b32 v[26:27], v7 offset0:14 offset1:104
	v_add_nc_u32_e32 v33, 0xa00, v4
	global_wb scope:SCOPE_SE
	s_wait_loadcnt_dscnt 0x0
	s_barrier_signal -1
	v_mad_u32_u24 v31, 0x190, v31, 0
	s_barrier_wait -1
	global_inv scope:SCOPE_SE
	v_add3_u32 v28, v31, v28, v17
	v_lshrrev_b32_e32 v31, 16, v30
	v_lshrrev_b32_e32 v34, 16, v21
	;; [unrolled: 1-line block ×19, first 2 shown]
	v_mul_f16_e32 v52, v43, v38
	v_mul_f16_e32 v43, v43, v24
	;; [unrolled: 1-line block ×18, first 2 shown]
	v_fmac_f16_e32 v52, v9, v24
	v_fma_f16 v9, v9, v38, -v43
	v_fmac_f16_e32 v53, v10, v25
	v_fma_f16 v10, v10, v39, -v44
	v_fmac_f16_e32 v54, v11, v26
	v_fma_f16 v11, v11, v40, -v45
	v_fmac_f16_e32 v55, v12, v27
	v_fma_f16 v12, v12, v41, -v46
	v_fmac_f16_e32 v56, v13, v20
	v_fma_f16 v13, v13, v42, -v47
	v_fmac_f16_e32 v57, v21, v14
	v_fma_f16 v14, v34, v14, -v48
	v_fmac_f16_e32 v58, v22, v15
	v_fma_f16 v15, v35, v15, -v49
	v_fmac_f16_e32 v59, v23, v16
	v_fma_f16 v16, v36, v16, -v50
	v_fma_f16 v20, v37, v29, -v51
	v_fmac_f16_e32 v60, v32, v29
	v_add_f16_e32 v21, v30, v53
	v_sub_f16_e32 v25, v53, v55
	v_sub_f16_e32 v26, v59, v57
	v_add_f16_e32 v27, v53, v59
	v_sub_f16_e32 v29, v55, v53
	v_sub_f16_e32 v32, v57, v59
	;; [unrolled: 1-line block ×5, first 2 shown]
	v_add_f16_e32 v51, v9, v11
	v_add_f16_e32 v53, v13, v15
	;; [unrolled: 1-line block ×6, first 2 shown]
	v_sub_f16_e32 v44, v11, v20
	v_sub_f16_e32 v45, v13, v15
	;; [unrolled: 1-line block ×3, first 2 shown]
	v_add_f16_e32 v48, v54, v60
	v_sub_f16_e32 v49, v56, v54
	v_sub_f16_e32 v54, v54, v60
	;; [unrolled: 1-line block ×4, first 2 shown]
	v_add_f16_e32 v25, v25, v26
	v_add_f16_e32 v26, v29, v32
	;; [unrolled: 1-line block ×4, first 2 shown]
	v_fma_f16 v39, -0.5, v53, v9
	v_add_f16_e32 v22, v55, v57
	v_add_f16_e32 v35, v12, v14
	;; [unrolled: 1-line block ×3, first 2 shown]
	v_sub_f16_e32 v61, v56, v58
	v_fmac_f16_e32 v9, -0.5, v64
	v_sub_f16_e32 v23, v10, v16
	v_sub_f16_e32 v24, v12, v14
	;; [unrolled: 1-line block ×6, first 2 shown]
	v_add_f16_e32 v12, v34, v12
	v_fma_f16 v34, -0.5, v43, v52
	v_add_f16_e32 v13, v13, v15
	v_fmamk_f16 v15, v54, 0x3b9c, v39
	v_sub_f16_e32 v37, v55, v57
	v_add_f16_e32 v21, v21, v55
	v_fma_f16 v22, -0.5, v22, v30
	v_fmac_f16_e32 v30, -0.5, v27
	v_fma_f16 v27, -0.5, v35, v31
	v_fmac_f16_e32 v31, -0.5, v40
	v_add_f16_e32 v32, v42, v56
	v_fmac_f16_e32 v52, -0.5, v48
	v_fmamk_f16 v48, v61, 0xbb9c, v9
	v_fmac_f16_e32 v9, 0x3b9c, v61
	v_sub_f16_e32 v41, v14, v16
	v_fmac_f16_e32 v39, 0xbb9c, v54
	v_add_f16_e32 v35, v46, v47
	v_add_f16_e32 v40, v62, v63
	;; [unrolled: 1-line block ×3, first 2 shown]
	v_fmamk_f16 v46, v44, 0xbb9c, v34
	v_fmac_f16_e32 v15, 0x38b4, v61
	v_sub_f16_e32 v50, v58, v60
	v_add_f16_e32 v11, v11, v65
	v_add_f16_e32 v21, v21, v57
	v_fmamk_f16 v43, v37, 0xbb9c, v31
	v_fmac_f16_e32 v31, 0x3b9c, v37
	v_add_f16_e32 v32, v32, v58
	v_fmamk_f16 v47, v45, 0x3b9c, v52
	v_fmac_f16_e32 v52, 0xbb9c, v45
	v_fmac_f16_e32 v48, 0x38b4, v54
	;; [unrolled: 1-line block ×3, first 2 shown]
	v_add_f16_e32 v10, v10, v41
	v_fmamk_f16 v41, v23, 0xbb9c, v22
	v_fmac_f16_e32 v22, 0x3b9c, v23
	v_fmac_f16_e32 v34, 0x3b9c, v44
	;; [unrolled: 1-line block ×3, first 2 shown]
	v_fmamk_f16 v14, v36, 0x3b9c, v27
	v_add_f16_e32 v12, v12, v16
	v_fmac_f16_e32 v46, 0xb8b4, v45
	v_add_f16_e32 v13, v13, v20
	v_fmac_f16_e32 v15, 0x34f2, v40
	v_add_f16_e32 v38, v49, v50
	v_fmamk_f16 v42, v24, 0x3b9c, v30
	v_fmac_f16_e32 v30, 0xbb9c, v24
	v_add_f16_e32 v21, v21, v59
	v_fmac_f16_e32 v43, 0x38b4, v36
	v_fmac_f16_e32 v31, 0xb8b4, v36
	v_add_f16_e32 v16, v32, v60
	v_fmac_f16_e32 v47, 0xb8b4, v44
	v_fmac_f16_e32 v52, 0x38b4, v44
	;; [unrolled: 1-line block ×11, first 2 shown]
	v_add_f16_e32 v11, v12, v13
	v_sub_f16_e32 v12, v12, v13
	v_mul_f16_e32 v13, 0xb8b4, v15
	v_mul_f16_e32 v15, 0x3a79, v15
	v_fmac_f16_e32 v42, 0xb8b4, v23
	v_fmac_f16_e32 v30, 0x38b4, v23
	;; [unrolled: 1-line block ×6, first 2 shown]
	v_add_f16_e32 v10, v21, v16
	v_sub_f16_e32 v16, v21, v16
	v_mul_f16_e32 v20, 0xbb9c, v48
	v_mul_f16_e32 v21, 0xbb9c, v9
	;; [unrolled: 1-line block ×4, first 2 shown]
	v_fmac_f16_e32 v27, 0xb8b4, v37
	v_fmac_f16_e32 v41, 0x34f2, v25
	v_fmac_f16_e32 v22, 0x34f2, v25
	v_fmac_f16_e32 v34, 0x34f2, v35
	v_mul_f16_e32 v23, 0xb8b4, v39
	v_mul_f16_e32 v25, 0xba79, v39
	v_fmac_f16_e32 v14, 0x34f2, v29
	v_fmac_f16_e32 v13, 0x3a79, v46
	;; [unrolled: 1-line block ×12, first 2 shown]
	v_pack_b32_f16 v10, v10, v11
	v_pack_b32_f16 v11, v16, v12
	v_add_f16_e32 v12, v41, v13
	v_add_f16_e32 v32, v14, v15
	;; [unrolled: 1-line block ×8, first 2 shown]
	v_sub_f16_e32 v13, v41, v13
	v_sub_f16_e32 v37, v42, v20
	;; [unrolled: 1-line block ×8, first 2 shown]
	v_pack_b32_f16 v12, v12, v32
	v_pack_b32_f16 v16, v16, v34
	;; [unrolled: 1-line block ×8, first 2 shown]
	ds_store_2addr_b32 v28, v10, v12 offset1:10
	ds_store_2addr_b32 v28, v16, v22 offset0:20 offset1:30
	ds_store_2addr_b32 v28, v23, v11 offset0:40 offset1:50
	;; [unrolled: 1-line block ×4, first 2 shown]
	global_wb scope:SCOPE_SE
	s_wait_dscnt 0x0
	s_barrier_signal -1
	s_barrier_wait -1
	global_inv scope:SCOPE_SE
	ds_load_b32 v28, v18
	ds_load_2addr_b32 v[15:16], v7 offset0:44 offset1:134
	ds_load_2addr_b32 v[11:12], v8 offset0:96 offset1:216
	ds_load_2addr_b32 v[9:10], v4 offset0:90 offset1:180
	ds_load_2addr_b32 v[13:14], v33 offset0:50 offset1:140
                                        ; implicit-def: $vgpr26
                                        ; implicit-def: $vgpr25
                                        ; implicit-def: $vgpr29
                                        ; implicit-def: $vgpr27
	s_and_saveexec_b32 s1, s0
	s_cbranch_execz .LBB0_21
; %bb.20:
	ds_load_b32 v20, v4 offset:1080
	ds_load_b32 v25, v4 offset:3480
	;; [unrolled: 1-line block ×3, first 2 shown]
	s_wait_dscnt 0x2
	v_lshrrev_b32_e32 v21, 16, v20
	s_wait_dscnt 0x1
	v_lshrrev_b32_e32 v26, 16, v25
	;; [unrolled: 2-line block ×3, first 2 shown]
.LBB0_21:
	s_wait_alu 0xfffe
	s_or_b32 exec_lo, exec_lo, s1
	v_add_nc_u32_e32 v23, 0x5a, v3
	v_add_nc_u32_e32 v7, -10, v3
	v_cmp_gt_u32_e64 s1, 10, v3
	v_dual_mov_b32 v31, 0 :: v_dual_lshlrev_b32 v30, 1, v3
	v_add_nc_u32_e32 v24, 0xb4, v3
	v_add_nc_u32_e32 v22, 0x10e, v3
	s_wait_alu 0xf1ff
	v_cndmask_b32_e64 v40, v7, v23, s1
	s_wait_dscnt 0x3
	v_lshrrev_b32_e32 v46, 16, v15
	v_lshlrev_b64_e32 v[7:8], 2, v[30:31]
	v_lshrrev_b16 v34, 2, v24
	v_lshrrev_b16 v36, 2, v22
	v_lshlrev_b32_e32 v30, 1, v40
	v_lshlrev_b32_e32 v40, 2, v40
	s_wait_dscnt 0x2
	v_lshrrev_b32_e32 v47, 16, v12
	v_add_co_u32 v7, s1, s8, v7
	v_lshlrev_b64_e32 v[30:31], 2, v[30:31]
	s_wait_alu 0xf1ff
	v_add_co_ci_u32_e64 v8, s1, s9, v8, s1
	v_and_b32_e32 v37, 0xffff, v34
	v_lshrrev_b32_e32 v42, 16, v28
	v_lshrrev_b32_e32 v48, 16, v16
	v_add_co_u32 v30, s1, s8, v30
	s_wait_alu 0xf1ff
	v_add_co_ci_u32_e64 v31, s1, s9, v31, s1
	global_load_b64 v[32:33], v[7:8], off offset:360
	v_cmp_lt_u32_e64 s1, 9, v3
	s_wait_dscnt 0x0
	v_lshrrev_b32_e32 v49, 16, v13
	global_load_b64 v[34:35], v[30:31], off offset:360
	v_and_b32_e32 v30, 0xffff, v36
	v_mul_u32_u24_e32 v31, 0x147b, v37
	s_wait_alu 0xf1ff
	v_cndmask_b32_e64 v43, 0, 0x4b0, s1
	v_lshrrev_b32_e32 v44, 16, v9
	v_lshrrev_b32_e32 v50, 16, v11
	v_mul_u32_u24_e32 v30, 0x147b, v30
	v_lshrrev_b32_e32 v31, 17, v31
	v_add_nc_u32_e32 v43, 0, v43
	v_lshrrev_b32_e32 v51, 16, v14
	v_lshrrev_b32_e32 v45, 16, v10
	;; [unrolled: 1-line block ×3, first 2 shown]
	v_mul_lo_u16 v36, 0x64, v31
	v_add3_u32 v40, v43, v40, v17
	v_mad_u32_u24 v31, 0x4b0, v31, 0
	s_delay_alu instid0(VALU_DEP_4) | instskip(NEXT) | instid1(VALU_DEP_4)
	v_mul_lo_u16 v30, 0x64, v30
	v_sub_nc_u16 v36, v24, v36
	s_delay_alu instid0(VALU_DEP_2) | instskip(NEXT) | instid1(VALU_DEP_2)
	v_sub_nc_u16 v30, v22, v30
	v_and_b32_e32 v41, 0xffff, v36
	s_delay_alu instid0(VALU_DEP_2) | instskip(NEXT) | instid1(VALU_DEP_2)
	v_and_b32_e32 v30, 0xffff, v30
	v_lshlrev_b32_e32 v36, 3, v41
	v_lshlrev_b32_e32 v41, 2, v41
	s_delay_alu instid0(VALU_DEP_3)
	v_lshlrev_b32_e32 v38, 3, v30
	s_clause 0x1
	global_load_b64 v[36:37], v36, s[8:9] offset:360
	global_load_b64 v[38:39], v38, s[8:9] offset:360
	v_add3_u32 v31, v31, v41, v17
	global_wb scope:SCOPE_SE
	s_wait_loadcnt 0x0
	s_barrier_signal -1
	s_barrier_wait -1
	global_inv scope:SCOPE_SE
	v_lshrrev_b32_e32 v43, 16, v32
	v_lshrrev_b32_e32 v52, 16, v33
	s_delay_alu instid0(VALU_DEP_2) | instskip(SKIP_1) | instid1(VALU_DEP_3)
	v_mul_f16_e32 v53, v43, v46
	v_mul_f16_e32 v41, v43, v15
	;; [unrolled: 1-line block ×4, first 2 shown]
	s_delay_alu instid0(VALU_DEP_4)
	v_fmac_f16_e32 v53, v32, v15
	v_lshrrev_b32_e32 v15, 16, v34
	v_fma_f16 v32, v32, v46, -v41
	v_lshrrev_b32_e32 v41, 16, v35
	v_fmac_f16_e32 v43, v33, v12
	v_fma_f16 v12, v33, v47, -v52
	v_mul_f16_e32 v33, v15, v48
	v_mul_f16_e32 v15, v15, v16
	;; [unrolled: 1-line block ×4, first 2 shown]
	v_add_f16_e32 v47, v28, v53
	v_add_f16_e32 v52, v53, v43
	v_sub_f16_e32 v54, v32, v12
	v_add_f16_e32 v55, v42, v32
	v_add_f16_e32 v32, v32, v12
	v_sub_f16_e32 v53, v53, v43
	v_fmac_f16_e32 v33, v34, v16
	v_fma_f16 v15, v34, v48, -v15
	v_fmac_f16_e32 v46, v35, v13
	v_fmac_f16_e32 v28, -0.5, v52
	v_fma_f16 v13, v35, v49, -v41
	v_fmac_f16_e32 v42, -0.5, v32
	v_add_f16_e32 v16, v47, v43
	v_add_f16_e32 v12, v55, v12
	v_fmamk_f16 v32, v54, 0xbaee, v28
	v_add_f16_e32 v35, v9, v33
	v_fmamk_f16 v34, v53, 0x3aee, v42
	v_add_f16_e32 v41, v33, v46
	v_sub_f16_e32 v43, v15, v13
	v_add_f16_e32 v47, v44, v15
	v_add_f16_e32 v15, v15, v13
	v_pack_b32_f16 v12, v16, v12
	v_lshrrev_b32_e32 v16, 16, v36
	v_lshrrev_b32_e32 v48, 16, v37
	v_fmac_f16_e32 v28, 0x3aee, v54
	v_fmac_f16_e32 v42, 0xbaee, v53
	v_lshrrev_b32_e32 v49, 16, v38
	v_lshrrev_b32_e32 v52, 16, v39
	v_add_f16_e32 v35, v35, v46
	v_fma_f16 v9, -0.5, v41, v9
	v_add_f16_e32 v13, v47, v13
	v_fmac_f16_e32 v44, -0.5, v15
	v_pack_b32_f16 v15, v32, v34
	v_mul_f16_e32 v32, v16, v50
	v_mul_f16_e32 v16, v16, v11
	;; [unrolled: 1-line block ×4, first 2 shown]
	v_pack_b32_f16 v28, v28, v42
	v_sub_f16_e32 v33, v33, v46
	v_mul_f16_e32 v42, v29, v49
	v_mul_f16_e32 v46, v27, v49
	;; [unrolled: 1-line block ×4, first 2 shown]
	ds_store_2addr_b32 v4, v12, v15 offset1:100
	ds_store_b32 v4, v28 offset:800
	v_pack_b32_f16 v12, v35, v13
	v_fmac_f16_e32 v32, v36, v11
	v_fma_f16 v11, v36, v50, -v16
	v_fmac_f16_e32 v34, v37, v14
	v_fma_f16 v13, v37, v51, -v41
	;; [unrolled: 2-line block ×4, first 2 shown]
	v_add_f16_e32 v26, v32, v34
	v_sub_f16_e32 v27, v11, v13
	v_add_f16_e32 v28, v45, v11
	v_add_f16_e32 v11, v11, v13
	v_fmamk_f16 v49, v43, 0xbaee, v9
	v_fmac_f16_e32 v9, 0x3aee, v43
	v_fmamk_f16 v43, v33, 0x3aee, v44
	v_fmac_f16_e32 v44, 0xbaee, v33
	v_add_f16_e32 v33, v42, v47
	v_sub_f16_e32 v35, v14, v15
	v_add_f16_e32 v36, v21, v14
	v_add_f16_e32 v14, v14, v15
	;; [unrolled: 1-line block ×3, first 2 shown]
	v_sub_f16_e32 v29, v32, v34
	v_fmac_f16_e32 v10, -0.5, v26
	v_fmac_f16_e32 v45, -0.5, v11
	v_add_f16_e32 v32, v20, v42
	v_sub_f16_e32 v37, v42, v47
	v_fmac_f16_e32 v20, -0.5, v33
	v_fmac_f16_e32 v21, -0.5, v14
	v_add_f16_e32 v34, v25, v34
	v_add_f16_e32 v13, v28, v13
	v_fmamk_f16 v11, v27, 0xbaee, v10
	v_fmamk_f16 v14, v29, 0x3aee, v45
	v_fmac_f16_e32 v10, 0x3aee, v27
	v_fmac_f16_e32 v45, 0xbaee, v29
	v_pack_b32_f16 v16, v49, v43
	v_add_f16_e32 v25, v32, v47
	v_add_f16_e32 v26, v36, v15
	v_fmamk_f16 v27, v35, 0xbaee, v20
	v_fmac_f16_e32 v20, 0x3aee, v35
	v_fmamk_f16 v28, v37, 0x3aee, v21
	v_fmac_f16_e32 v21, 0xbaee, v37
	v_pack_b32_f16 v9, v9, v44
	v_pack_b32_f16 v13, v34, v13
	;; [unrolled: 1-line block ×4, first 2 shown]
	ds_store_2addr_b32 v40, v12, v16 offset1:100
	ds_store_b32 v40, v9 offset:800
	ds_store_2addr_b32 v31, v13, v11 offset1:100
	ds_store_b32 v31, v10 offset:800
	s_and_saveexec_b32 s1, s0
	s_cbranch_execz .LBB0_23
; %bb.22:
	v_lshlrev_b32_e32 v9, 2, v30
	v_perm_b32 v10, v26, v25, 0x5040100
	v_perm_b32 v11, v28, v27, 0x5040100
	;; [unrolled: 1-line block ×3, first 2 shown]
	s_delay_alu instid0(VALU_DEP_4) | instskip(NEXT) | instid1(VALU_DEP_1)
	v_add3_u32 v9, 0, v9, v17
	v_add_nc_u32_e32 v12, 0x800, v9
	ds_store_2addr_b32 v12, v10, v11 offset0:88 offset1:188
	ds_store_b32 v9, v13 offset:3200
.LBB0_23:
	s_wait_alu 0xfffe
	s_or_b32 exec_lo, exec_lo, s1
	v_add_nc_u32_e32 v9, 0x400, v4
	v_add_nc_u32_e32 v10, 0x600, v4
	;; [unrolled: 1-line block ×3, first 2 shown]
	global_wb scope:SCOPE_SE
	s_wait_dscnt 0x0
	s_barrier_signal -1
	s_barrier_wait -1
	global_inv scope:SCOPE_SE
	ds_load_b32 v18, v18
	ds_load_2addr_b32 v[15:16], v9 offset0:44 offset1:134
	ds_load_2addr_b32 v[11:12], v10 offset0:96 offset1:216
	;; [unrolled: 1-line block ×4, first 2 shown]
	v_mul_i32_i24_e32 v29, 0xffffffdc, v3
	s_and_saveexec_b32 s1, s0
	s_cbranch_execz .LBB0_25
; %bb.24:
	ds_load_b32 v25, v4 offset:1080
	ds_load_b32 v20, v4 offset:3480
	;; [unrolled: 1-line block ×3, first 2 shown]
	s_wait_dscnt 0x2
	v_lshrrev_b32_e32 v26, 16, v25
	s_wait_dscnt 0x1
	v_lshrrev_b32_e32 v21, 16, v20
	;; [unrolled: 2-line block ×3, first 2 shown]
.LBB0_25:
	s_wait_alu 0xfffe
	s_or_b32 exec_lo, exec_lo, s1
	global_load_b64 v[30:31], v[7:8], off offset:1160
	v_dual_mov_b32 v8, 0 :: v_dual_lshlrev_b32 v7, 1, v23
	s_wait_dscnt 0x3
	v_lshrrev_b32_e32 v37, 16, v15
	s_wait_dscnt 0x2
	v_lshrrev_b32_e32 v39, 16, v12
	;; [unrolled: 2-line block ×3, first 2 shown]
	v_lshrrev_b32_e32 v41, 16, v16
	v_lshlrev_b64_e32 v[32:33], 2, v[7:8]
	v_lshlrev_b32_e32 v7, 1, v24
	v_add3_u32 v17, v19, v29, v17
	v_lshrrev_b32_e32 v19, 16, v14
	v_lshrrev_b32_e32 v29, 16, v11
	;; [unrolled: 1-line block ×3, first 2 shown]
	v_add_co_u32 v23, s1, s8, v32
	s_wait_alu 0xf1ff
	v_add_co_ci_u32_e64 v24, s1, s9, v33, s1
	v_lshlrev_b64_e32 v[32:33], 2, v[7:8]
	v_lshrrev_b32_e32 v7, 16, v18
	v_lshrrev_b32_e32 v35, 16, v10
	global_load_b64 v[23:24], v[23:24], off offset:1160
	v_add_co_u32 v32, s1, s8, v32
	s_wait_alu 0xf1ff
	v_add_co_ci_u32_e64 v33, s1, s9, v33, s1
	global_load_b64 v[32:33], v[32:33], off offset:1160
	global_wb scope:SCOPE_SE
	s_wait_loadcnt 0x0
	s_barrier_signal -1
	s_barrier_wait -1
	global_inv scope:SCOPE_SE
	v_lshrrev_b32_e32 v38, 16, v30
	v_lshrrev_b32_e32 v40, 16, v31
	s_delay_alu instid0(VALU_DEP_2) | instskip(SKIP_1) | instid1(VALU_DEP_3)
	v_mul_f16_e32 v42, v38, v37
	v_mul_f16_e32 v38, v38, v15
	;; [unrolled: 1-line block ×4, first 2 shown]
	s_delay_alu instid0(VALU_DEP_4) | instskip(NEXT) | instid1(VALU_DEP_4)
	v_fmac_f16_e32 v42, v30, v15
	v_fma_f16 v15, v30, v37, -v38
	s_delay_alu instid0(VALU_DEP_4) | instskip(NEXT) | instid1(VALU_DEP_4)
	v_fmac_f16_e32 v43, v31, v12
	v_fma_f16 v12, v31, v39, -v40
	s_delay_alu instid0(VALU_DEP_4) | instskip(NEXT) | instid1(VALU_DEP_4)
	v_add_f16_e32 v30, v18, v42
	v_add_f16_e32 v38, v7, v15
	s_delay_alu instid0(VALU_DEP_4) | instskip(NEXT) | instid1(VALU_DEP_4)
	v_add_f16_e32 v31, v42, v43
	v_sub_f16_e32 v37, v15, v12
	v_add_f16_e32 v15, v15, v12
	v_sub_f16_e32 v39, v42, v43
	v_lshrrev_b32_e32 v40, 16, v23
	v_lshrrev_b32_e32 v42, 16, v24
	v_add_f16_e32 v30, v30, v43
	v_fmac_f16_e32 v18, -0.5, v31
	v_add_f16_e32 v12, v38, v12
	v_fmac_f16_e32 v7, -0.5, v15
	v_mul_f16_e32 v15, v40, v41
	v_mul_f16_e32 v31, v40, v16
	;; [unrolled: 1-line block ×4, first 2 shown]
	v_lshrrev_b32_e32 v42, 16, v32
	v_lshrrev_b32_e32 v43, 16, v33
	v_fmamk_f16 v44, v37, 0xbaee, v18
	v_fmac_f16_e32 v18, 0x3aee, v37
	v_fmamk_f16 v37, v39, 0x3aee, v7
	v_fmac_f16_e32 v7, 0xbaee, v39
	v_pack_b32_f16 v12, v30, v12
	v_fmac_f16_e32 v15, v23, v16
	v_fma_f16 v16, v23, v41, -v31
	v_fmac_f16_e32 v38, v24, v13
	v_fma_f16 v13, v24, v36, -v40
	v_mul_f16_e32 v23, v42, v29
	v_mul_f16_e32 v24, v42, v11
	;; [unrolled: 1-line block ×4, first 2 shown]
	v_pack_b32_f16 v36, v44, v37
	v_pack_b32_f16 v7, v18, v7
	v_fmac_f16_e32 v23, v32, v11
	v_fma_f16 v11, v32, v29, -v24
	v_fmac_f16_e32 v30, v33, v14
	v_fma_f16 v14, v33, v19, -v31
	v_add_f16_e32 v18, v9, v15
	v_add_f16_e32 v19, v15, v38
	v_sub_f16_e32 v24, v16, v13
	v_add_f16_e32 v29, v34, v16
	v_add_f16_e32 v16, v16, v13
	v_sub_f16_e32 v15, v15, v38
	ds_store_b32 v4, v36 offset:1200
	ds_store_b32 v4, v7 offset:2400
	v_add_f16_e32 v7, v18, v38
	v_fma_f16 v9, -0.5, v19, v9
	v_add_f16_e32 v13, v29, v13
	v_fmac_f16_e32 v34, -0.5, v16
	v_add_f16_e32 v16, v10, v23
	v_sub_f16_e32 v19, v11, v14
	v_add_f16_e32 v29, v35, v11
	v_add_f16_e32 v11, v11, v14
	;; [unrolled: 1-line block ×3, first 2 shown]
	v_fmamk_f16 v31, v24, 0xbaee, v9
	v_fmac_f16_e32 v9, 0x3aee, v24
	v_fmamk_f16 v24, v15, 0x3aee, v34
	v_fmac_f16_e32 v34, 0xbaee, v15
	v_add_f16_e32 v15, v16, v30
	v_fmac_f16_e32 v35, -0.5, v11
	v_add_f16_e32 v11, v29, v14
	v_pack_b32_f16 v7, v7, v13
	v_sub_f16_e32 v23, v23, v30
	v_fmac_f16_e32 v10, -0.5, v18
	ds_store_2addr_b32 v4, v12, v7 offset1:90
	v_pack_b32_f16 v7, v15, v11
	v_fmamk_f16 v13, v19, 0xbaee, v10
	v_fmac_f16_e32 v10, 0x3aee, v19
	v_fmamk_f16 v14, v23, 0x3aee, v35
	v_fmac_f16_e32 v35, 0xbaee, v23
	ds_store_b16 v17, v31 offset:1560
	ds_store_b16 v17, v24 offset:1562
	;; [unrolled: 1-line block ×4, first 2 shown]
	ds_store_b32 v4, v7 offset:720
	ds_store_b16 v17, v13 offset:1920
	ds_store_b16 v17, v14 offset:1922
	;; [unrolled: 1-line block ×4, first 2 shown]
	s_and_saveexec_b32 s1, s0
	s_cbranch_execz .LBB0_27
; %bb.26:
	v_subrev_nc_u32_e32 v7, 30, v3
	s_delay_alu instid0(VALU_DEP_1) | instskip(NEXT) | instid1(VALU_DEP_1)
	v_cndmask_b32_e64 v7, v7, v22, s0
	v_lshlrev_b32_e32 v7, 1, v7
	s_delay_alu instid0(VALU_DEP_1) | instskip(NEXT) | instid1(VALU_DEP_1)
	v_lshlrev_b64_e32 v[7:8], 2, v[7:8]
	v_add_co_u32 v7, s0, s8, v7
	s_wait_alu 0xf1ff
	s_delay_alu instid0(VALU_DEP_2) | instskip(SKIP_4) | instid1(VALU_DEP_2)
	v_add_co_ci_u32_e64 v8, s0, s9, v8, s0
	global_load_b64 v[7:8], v[7:8], off offset:1160
	s_wait_loadcnt 0x0
	v_lshrrev_b32_e32 v9, 16, v7
	v_lshrrev_b32_e32 v10, 16, v8
	v_mul_f16_e32 v11, v27, v9
	s_delay_alu instid0(VALU_DEP_2) | instskip(SKIP_2) | instid1(VALU_DEP_4)
	v_mul_f16_e32 v12, v20, v10
	v_mul_f16_e32 v9, v28, v9
	v_mul_f16_e32 v10, v21, v10
	v_fma_f16 v11, v28, v7, -v11
	s_delay_alu instid0(VALU_DEP_4) | instskip(NEXT) | instid1(VALU_DEP_4)
	v_fma_f16 v12, v21, v8, -v12
	v_fmac_f16_e32 v9, v27, v7
	s_delay_alu instid0(VALU_DEP_4) | instskip(NEXT) | instid1(VALU_DEP_4)
	v_fmac_f16_e32 v10, v20, v8
	v_add_f16_e32 v14, v26, v11
	s_delay_alu instid0(VALU_DEP_4) | instskip(SKIP_1) | instid1(VALU_DEP_4)
	v_add_f16_e32 v7, v11, v12
	v_sub_f16_e32 v11, v11, v12
	v_add_f16_e32 v13, v9, v10
	v_sub_f16_e32 v8, v9, v10
	v_add_f16_e32 v9, v25, v9
	v_fma_f16 v7, -0.5, v7, v26
	v_add_f16_e32 v12, v14, v12
	v_fma_f16 v13, -0.5, v13, v25
	s_delay_alu instid0(VALU_DEP_4) | instskip(NEXT) | instid1(VALU_DEP_4)
	v_add_f16_e32 v9, v9, v10
	v_fmamk_f16 v10, v8, 0xbaee, v7
	v_fmac_f16_e32 v7, 0x3aee, v8
	s_delay_alu instid0(VALU_DEP_4) | instskip(SKIP_2) | instid1(VALU_DEP_3)
	v_fmamk_f16 v8, v11, 0x3aee, v13
	v_fmac_f16_e32 v13, 0xbaee, v11
	v_pack_b32_f16 v9, v9, v12
	v_pack_b32_f16 v8, v8, v10
	s_delay_alu instid0(VALU_DEP_3)
	v_pack_b32_f16 v7, v13, v7
	ds_store_b32 v4, v9 offset:1080
	ds_store_b32 v4, v7 offset:2280
	;; [unrolled: 1-line block ×3, first 2 shown]
.LBB0_27:
	s_wait_alu 0xfffe
	s_or_b32 exec_lo, exec_lo, s1
	global_wb scope:SCOPE_SE
	s_wait_dscnt 0x0
	s_barrier_signal -1
	s_barrier_wait -1
	global_inv scope:SCOPE_SE
	s_and_saveexec_b32 s0, vcc_lo
	s_cbranch_execz .LBB0_29
; %bb.28:
	v_mul_lo_u32 v7, s3, v5
	v_mul_lo_u32 v8, s2, v6
	v_mad_co_u64_u32 v[5:6], null, s2, v5, 0
	v_mov_b32_e32 v4, 0
	v_lshl_add_u32 v29, v3, 2, v0
	v_lshlrev_b64_e32 v[0:1], 2, v[1:2]
	ds_load_2addr_b32 v[13:14], v29 offset1:90
	v_add3_u32 v6, v6, v8, v7
	v_add_nc_u32_e32 v7, 0x5a, v3
	v_dual_mov_b32 v8, v4 :: v_dual_add_nc_u32 v9, 0xb4, v3
	v_lshlrev_b64_e32 v[15:16], 2, v[3:4]
	s_delay_alu instid0(VALU_DEP_4) | instskip(SKIP_3) | instid1(VALU_DEP_4)
	v_lshlrev_b64_e32 v[5:6], 2, v[5:6]
	v_dual_mov_b32 v10, v4 :: v_dual_add_nc_u32 v11, 0x10e, v3
	v_dual_mov_b32 v12, v4 :: v_dual_add_nc_u32 v17, 0x200, v29
	;; [unrolled: 1-line block ×3, first 2 shown]
	v_add_co_u32 v2, vcc_lo, s6, v5
	s_wait_alu 0xfffd
	v_add_co_ci_u32_e32 v5, vcc_lo, s7, v6, vcc_lo
	v_lshlrev_b64_e32 v[11:12], 2, v[11:12]
	s_delay_alu instid0(VALU_DEP_3) | instskip(SKIP_1) | instid1(VALU_DEP_3)
	v_add_co_u32 v31, vcc_lo, v2, v0
	s_wait_alu 0xfffd
	v_add_co_ci_u32_e32 v32, vcc_lo, v5, v1, vcc_lo
	v_lshlrev_b64_e32 v[0:1], 2, v[7:8]
	s_delay_alu instid0(VALU_DEP_3)
	v_add_co_u32 v5, vcc_lo, v31, v15
	v_lshlrev_b64_e32 v[7:8], 2, v[9:10]
	s_wait_alu 0xfffd
	v_add_co_ci_u32_e32 v6, vcc_lo, v32, v16, vcc_lo
	v_dual_mov_b32 v16, v4 :: v_dual_add_nc_u32 v15, 0x168, v3
	v_add_nc_u32_e32 v2, 0x400, v29
	v_add_co_u32 v0, vcc_lo, v31, v0
	s_wait_alu 0xfffd
	v_add_co_ci_u32_e32 v1, vcc_lo, v32, v1, vcc_lo
	v_add_co_u32 v7, vcc_lo, v31, v7
	v_lshlrev_b64_e32 v[15:16], 2, v[15:16]
	ds_load_2addr_b32 v[9:10], v17 offset0:52 offset1:142
	ds_load_2addr_b32 v[17:18], v2 offset0:104 offset1:194
	v_dual_mov_b32 v22, v4 :: v_dual_add_nc_u32 v21, 0x21c, v3
	v_add_nc_u32_e32 v2, 0x800, v29
	s_wait_alu 0xfffd
	v_add_co_ci_u32_e32 v8, vcc_lo, v32, v8, vcc_lo
	v_add_co_u32 v11, vcc_lo, v31, v11
	v_lshlrev_b64_e32 v[19:20], 2, v[19:20]
	v_dual_mov_b32 v24, v4 :: v_dual_add_nc_u32 v23, 0x276, v3
	s_wait_alu 0xfffd
	v_add_co_ci_u32_e32 v12, vcc_lo, v32, v12, vcc_lo
	v_add_co_u32 v15, vcc_lo, v31, v15
	ds_load_2addr_b32 v[25:26], v2 offset0:28 offset1:118
	v_lshlrev_b64_e32 v[21:22], 2, v[21:22]
	v_add_nc_u32_e32 v2, 0xa00, v29
	v_dual_mov_b32 v28, v4 :: v_dual_add_nc_u32 v27, 0x2d0, v3
	s_wait_alu 0xfffd
	v_add_co_ci_u32_e32 v16, vcc_lo, v32, v16, vcc_lo
	v_add_co_u32 v19, vcc_lo, v31, v19
	v_lshlrev_b64_e32 v[23:24], 2, v[23:24]
	v_add_nc_u32_e32 v3, 0x32a, v3
	s_wait_alu 0xfffd
	v_add_co_ci_u32_e32 v20, vcc_lo, v32, v20, vcc_lo
	ds_load_2addr_b32 v[29:30], v2 offset0:80 offset1:170
	v_add_co_u32 v21, vcc_lo, v31, v21
	v_lshlrev_b64_e32 v[27:28], 2, v[27:28]
	s_wait_alu 0xfffd
	v_add_co_ci_u32_e32 v22, vcc_lo, v32, v22, vcc_lo
	v_add_co_u32 v23, vcc_lo, v31, v23
	v_lshlrev_b64_e32 v[2:3], 2, v[3:4]
	s_wait_alu 0xfffd
	v_add_co_ci_u32_e32 v24, vcc_lo, v32, v24, vcc_lo
	v_add_co_u32 v27, vcc_lo, v31, v27
	s_wait_alu 0xfffd
	v_add_co_ci_u32_e32 v28, vcc_lo, v32, v28, vcc_lo
	v_add_co_u32 v2, vcc_lo, v31, v2
	s_wait_alu 0xfffd
	v_add_co_ci_u32_e32 v3, vcc_lo, v32, v3, vcc_lo
	s_wait_dscnt 0x4
	s_clause 0x1
	global_store_b32 v[5:6], v13, off
	global_store_b32 v[0:1], v14, off
	s_wait_dscnt 0x3
	s_clause 0x1
	global_store_b32 v[7:8], v9, off
	global_store_b32 v[11:12], v10, off
	;; [unrolled: 4-line block ×5, first 2 shown]
.LBB0_29:
	s_nop 0
	s_sendmsg sendmsg(MSG_DEALLOC_VGPRS)
	s_endpgm
	.section	.rodata,"a",@progbits
	.p2align	6, 0x0
	.amdhsa_kernel fft_rtc_back_len900_factors_10_10_3_3_wgs_180_tpt_90_halfLds_half_op_CI_CI_unitstride_sbrr_C2R_dirReg
		.amdhsa_group_segment_fixed_size 0
		.amdhsa_private_segment_fixed_size 0
		.amdhsa_kernarg_size 104
		.amdhsa_user_sgpr_count 2
		.amdhsa_user_sgpr_dispatch_ptr 0
		.amdhsa_user_sgpr_queue_ptr 0
		.amdhsa_user_sgpr_kernarg_segment_ptr 1
		.amdhsa_user_sgpr_dispatch_id 0
		.amdhsa_user_sgpr_private_segment_size 0
		.amdhsa_wavefront_size32 1
		.amdhsa_uses_dynamic_stack 0
		.amdhsa_enable_private_segment 0
		.amdhsa_system_sgpr_workgroup_id_x 1
		.amdhsa_system_sgpr_workgroup_id_y 0
		.amdhsa_system_sgpr_workgroup_id_z 0
		.amdhsa_system_sgpr_workgroup_info 0
		.amdhsa_system_vgpr_workitem_id 0
		.amdhsa_next_free_vgpr 66
		.amdhsa_next_free_sgpr 39
		.amdhsa_reserve_vcc 1
		.amdhsa_float_round_mode_32 0
		.amdhsa_float_round_mode_16_64 0
		.amdhsa_float_denorm_mode_32 3
		.amdhsa_float_denorm_mode_16_64 3
		.amdhsa_fp16_overflow 0
		.amdhsa_workgroup_processor_mode 1
		.amdhsa_memory_ordered 1
		.amdhsa_forward_progress 0
		.amdhsa_round_robin_scheduling 0
		.amdhsa_exception_fp_ieee_invalid_op 0
		.amdhsa_exception_fp_denorm_src 0
		.amdhsa_exception_fp_ieee_div_zero 0
		.amdhsa_exception_fp_ieee_overflow 0
		.amdhsa_exception_fp_ieee_underflow 0
		.amdhsa_exception_fp_ieee_inexact 0
		.amdhsa_exception_int_div_zero 0
	.end_amdhsa_kernel
	.text
.Lfunc_end0:
	.size	fft_rtc_back_len900_factors_10_10_3_3_wgs_180_tpt_90_halfLds_half_op_CI_CI_unitstride_sbrr_C2R_dirReg, .Lfunc_end0-fft_rtc_back_len900_factors_10_10_3_3_wgs_180_tpt_90_halfLds_half_op_CI_CI_unitstride_sbrr_C2R_dirReg
                                        ; -- End function
	.section	.AMDGPU.csdata,"",@progbits
; Kernel info:
; codeLenInByte = 8756
; NumSgprs: 41
; NumVgprs: 66
; ScratchSize: 0
; MemoryBound: 0
; FloatMode: 240
; IeeeMode: 1
; LDSByteSize: 0 bytes/workgroup (compile time only)
; SGPRBlocks: 5
; VGPRBlocks: 8
; NumSGPRsForWavesPerEU: 41
; NumVGPRsForWavesPerEU: 66
; Occupancy: 15
; WaveLimiterHint : 1
; COMPUTE_PGM_RSRC2:SCRATCH_EN: 0
; COMPUTE_PGM_RSRC2:USER_SGPR: 2
; COMPUTE_PGM_RSRC2:TRAP_HANDLER: 0
; COMPUTE_PGM_RSRC2:TGID_X_EN: 1
; COMPUTE_PGM_RSRC2:TGID_Y_EN: 0
; COMPUTE_PGM_RSRC2:TGID_Z_EN: 0
; COMPUTE_PGM_RSRC2:TIDIG_COMP_CNT: 0
	.text
	.p2alignl 7, 3214868480
	.fill 96, 4, 3214868480
	.type	__hip_cuid_33065c1b75deed53,@object ; @__hip_cuid_33065c1b75deed53
	.section	.bss,"aw",@nobits
	.globl	__hip_cuid_33065c1b75deed53
__hip_cuid_33065c1b75deed53:
	.byte	0                               ; 0x0
	.size	__hip_cuid_33065c1b75deed53, 1

	.ident	"AMD clang version 19.0.0git (https://github.com/RadeonOpenCompute/llvm-project roc-6.4.0 25133 c7fe45cf4b819c5991fe208aaa96edf142730f1d)"
	.section	".note.GNU-stack","",@progbits
	.addrsig
	.addrsig_sym __hip_cuid_33065c1b75deed53
	.amdgpu_metadata
---
amdhsa.kernels:
  - .args:
      - .actual_access:  read_only
        .address_space:  global
        .offset:         0
        .size:           8
        .value_kind:     global_buffer
      - .offset:         8
        .size:           8
        .value_kind:     by_value
      - .actual_access:  read_only
        .address_space:  global
        .offset:         16
        .size:           8
        .value_kind:     global_buffer
      - .actual_access:  read_only
        .address_space:  global
        .offset:         24
        .size:           8
        .value_kind:     global_buffer
      - .actual_access:  read_only
        .address_space:  global
        .offset:         32
        .size:           8
        .value_kind:     global_buffer
      - .offset:         40
        .size:           8
        .value_kind:     by_value
      - .actual_access:  read_only
        .address_space:  global
        .offset:         48
        .size:           8
        .value_kind:     global_buffer
      - .actual_access:  read_only
        .address_space:  global
        .offset:         56
        .size:           8
        .value_kind:     global_buffer
      - .offset:         64
        .size:           4
        .value_kind:     by_value
      - .actual_access:  read_only
        .address_space:  global
        .offset:         72
        .size:           8
        .value_kind:     global_buffer
      - .actual_access:  read_only
        .address_space:  global
        .offset:         80
        .size:           8
        .value_kind:     global_buffer
      - .actual_access:  read_only
        .address_space:  global
        .offset:         88
        .size:           8
        .value_kind:     global_buffer
      - .actual_access:  write_only
        .address_space:  global
        .offset:         96
        .size:           8
        .value_kind:     global_buffer
    .group_segment_fixed_size: 0
    .kernarg_segment_align: 8
    .kernarg_segment_size: 104
    .language:       OpenCL C
    .language_version:
      - 2
      - 0
    .max_flat_workgroup_size: 180
    .name:           fft_rtc_back_len900_factors_10_10_3_3_wgs_180_tpt_90_halfLds_half_op_CI_CI_unitstride_sbrr_C2R_dirReg
    .private_segment_fixed_size: 0
    .sgpr_count:     41
    .sgpr_spill_count: 0
    .symbol:         fft_rtc_back_len900_factors_10_10_3_3_wgs_180_tpt_90_halfLds_half_op_CI_CI_unitstride_sbrr_C2R_dirReg.kd
    .uniform_work_group_size: 1
    .uses_dynamic_stack: false
    .vgpr_count:     66
    .vgpr_spill_count: 0
    .wavefront_size: 32
    .workgroup_processor_mode: 1
amdhsa.target:   amdgcn-amd-amdhsa--gfx1201
amdhsa.version:
  - 1
  - 2
...

	.end_amdgpu_metadata
